;; amdgpu-corpus repo=zjin-lcf/HeCBench kind=compiled arch=gfx1250 opt=O3
	.amdgcn_target "amdgcn-amd-amdhsa--gfx1250"
	.amdhsa_code_object_version 6
	.text
	.protected	_Z9get_block15HIP_vector_typeIjLj2EEPKhPKtPKjPfS0_S0_6Params ; -- Begin function _Z9get_block15HIP_vector_typeIjLj2EEPKhPKtPKjPfS0_S0_6Params
	.globl	_Z9get_block15HIP_vector_typeIjLj2EEPKhPKtPKjPfS0_S0_6Params
	.p2align	8
	.type	_Z9get_block15HIP_vector_typeIjLj2EEPKhPKtPKjPfS0_S0_6Params,@function
_Z9get_block15HIP_vector_typeIjLj2EEPKhPKtPKjPfS0_S0_6Params: ; @_Z9get_block15HIP_vector_typeIjLj2EEPKhPKtPKjPfS0_S0_6Params
; %bb.0:
	s_clause 0x2
	s_load_b32 s5, s[0:1], 0x4c
	s_load_b64 s[2:3], s[0:1], 0x30
	s_load_b64 s[6:7], s[0:1], 0x0
	s_bfe_u32 s8, ttmp6, 0x4000c
	s_bfe_u32 s9, ttmp6, 0x40010
	s_add_co_i32 s8, s8, 1
	s_add_co_i32 s9, s9, 1
	s_and_b32 s4, ttmp6, 15
	s_bfe_u32 s10, ttmp6, 0x40004
	s_mul_i32 s8, ttmp9, s8
	s_mul_i32 s9, ttmp7, s9
	s_getreg_b32 s11, hwreg(HW_REG_IB_STS2, 6, 4)
	s_add_co_i32 s4, s4, s8
	s_add_co_i32 s10, s10, s9
	s_cmp_eq_u32 s11, 0
	s_cselect_b32 s8, ttmp7, s10
	s_cselect_b32 s4, ttmp9, s4
	s_wait_kmcnt 0x0
	s_mul_i32 s10, s5, s8
	s_add_co_i32 s11, s3, -1
	s_mul_i32 s9, s5, s4
	s_add_co_i32 s10, s10, s7
	s_add_co_i32 s7, s11, s5
	;; [unrolled: 1-line block ×3, first 2 shown]
	s_cmp_lt_u32 s10, s7
	s_cselect_b32 s6, s11, s10
	s_cmp_lt_u32 s10, s3
	s_cselect_b32 s6, s10, s6
	s_add_co_i32 s7, s2, -1
	s_delay_alu instid0(SALU_CYCLE_1) | instskip(NEXT) | instid1(SALU_CYCLE_1)
	s_add_co_i32 s5, s7, s5
	s_cmp_lt_u32 s9, s5
	s_cselect_b32 s5, s7, s9
	s_cmp_lt_u32 s9, s2
	s_cselect_b32 s7, s9, s5
	s_mov_b32 s5, 0
	s_cmp_ge_u32 s7, s2
	s_cselect_b32 s2, -1, 0
	s_cmp_ge_u32 s6, s3
	s_cselect_b32 s3, -1, 0
	s_delay_alu instid0(SALU_CYCLE_1) | instskip(NEXT) | instid1(SALU_CYCLE_1)
	s_or_b32 s2, s2, s3
	s_and_b32 vcc_lo, exec_lo, s2
	s_cbranch_vccnz .LBB0_11
; %bb.1:
	s_load_b32 s12, s[0:1], 0x28
	v_and_b32_e32 v8, 0x3ff, v0
	v_bfe_u32 v9, v0, 10, 10
	s_clause 0x1
	s_load_b64 s[2:3], s[0:1], 0x8
	s_load_b128 s[16:19], s[0:1], 0x18
	s_delay_alu instid0(VALU_DEP_1)
	v_dual_add_nc_u32 v0, s7, v8 :: v_dual_add_nc_u32 v2, s6, v9
	s_clause 0x1
	s_load_b64 s[6:7], s[0:1], 0x3c
	s_load_b32 s9, s[0:1], 0x58
	s_wait_kmcnt 0x0
	v_mad_u32 v1, v2, s12, v0
	v_mad_u32 v4, s6, v9, v8
	s_mul_i32 s8, s9, s8
	s_mul_i32 s13, s6, s6
	s_add_co_i32 s8, s8, s4
	global_load_u8 v1, v1, s[2:3]
	s_load_b32 s14, s[16:17], s8 offset:0x0 scale_offset
	s_add_co_i32 s4, s7, 1
	s_delay_alu instid0(SALU_CYCLE_1) | instskip(NEXT) | instid1(SALU_CYCLE_1)
	s_mul_i32 s4, s13, s4
	s_mul_i32 s4, s4, s8
	s_delay_alu instid0(SALU_CYCLE_1) | instskip(NEXT) | instid1(SALU_CYCLE_1)
	s_lshl_b64 s[4:5], s[4:5], 2
	s_add_nc_u64 s[4:5], s[18:19], s[4:5]
	s_wait_kmcnt 0x0
	s_cmp_eq_u32 s14, 0
	s_wait_loadcnt 0x0
	v_cvt_f32_ubyte0_e32 v1, v1
	global_store_b32 v4, v1, s[4:5] scale_offset
	s_cbranch_scc1 .LBB0_11
; %bb.2:
	s_load_b64 s[0:1], s[0:1], 0x10
	s_cmp_lt_u32 s14, 16
	s_mul_i32 s8, s8, s7
	s_cselect_b32 s10, -1, 0
	s_mov_b32 s9, 0
	s_and_b32 vcc_lo, exec_lo, s10
	s_cbranch_vccnz .LBB0_7
; %bb.3:
	v_dual_mov_b32 v6, 0 :: v_dual_add_nc_u32 v1, s6, v9
	s_add_co_i32 s7, s14, -1
	s_abs_i32 s10, s13
	s_delay_alu instid0(SALU_CYCLE_1) | instskip(NEXT) | instid1(VALU_DEP_1)
	s_mul_hi_u32 s11, s10, s7
	v_mad_u32 v1, s6, v1, v8
	s_cmp_eq_u32 s11, 0
	s_mul_i32 s10, s10, s7
	s_cselect_b32 s11, -1, 0
	s_not_b32 s15, s13
	s_delay_alu instid0(SALU_CYCLE_1)
	s_ashr_i32 s15, s15, 31
	s_delay_alu instid0(VALU_DEP_1) | instid1(SALU_CYCLE_1)
	v_xor_b32_e32 v1, s15, v1
	s_delay_alu instid0(VALU_DEP_1) | instskip(SKIP_2) | instid1(SALU_CYCLE_1)
	v_cmp_le_u32_e32 vcc_lo, s10, v1
	s_mov_b32 s10, -1
	s_and_b32 s11, vcc_lo, s11
	s_and_saveexec_b32 s7, s11
	s_cbranch_execz .LBB0_8
; %bb.4:
	v_dual_mov_b32 v1, v2 :: v_dual_mov_b32 v3, v0
	v_dual_mov_b32 v5, v4 :: v_dual_mov_b32 v7, 0
	s_lshl_b64 s[10:11], s[8:9], 1
	s_and_b32 s15, s14, -2
	s_mov_b32 s16, 1
	s_wait_kmcnt 0x0
	s_add_nc_u64 s[10:11], s[0:1], s[10:11]
	s_mov_b32 s17, s12
	s_mov_b32 s18, s13
	s_mov_b32 s19, 0
	s_mov_b32 s20, s15
.LBB0_5:                                ; =>This Inner Loop Header: Depth=1
	global_load_b32 v6, v7, s[10:11]
	s_add_co_i32 s22, s19, 1
	s_add_co_i32 s21, s16, 1
	s_add_co_i32 s20, s20, -2
	s_add_co_i32 s19, s19, 2
	s_add_co_i32 s16, s16, 2
	s_wait_xcnt 0x0
	s_add_nc_u64 s[10:11], s[10:11], 4
	s_cmp_lg_u32 s20, 0
	s_wait_loadcnt 0x0
	v_pk_lshrrev_b16 v10, 8, v6 op_sel_hi:[0,1]
	v_bfe_i32 v11, v6, 0, 8
	v_bfe_i32 v6, v6, 16, 8
	s_delay_alu instid0(VALU_DEP_3) | instskip(SKIP_1) | instid1(VALU_DEP_3)
	v_bfe_i32 v12, v10, 0, 8
	v_bfe_i32 v10, v10, 16, 8
	v_dual_add_nc_u32 v11, v0, v11 :: v_dual_add_nc_u32 v13, v3, v6
	s_delay_alu instid0(VALU_DEP_2) | instskip(NEXT) | instid1(VALU_DEP_1)
	v_dual_add_nc_u32 v6, v2, v12 :: v_dual_add_nc_u32 v10, v1, v10
	v_mad_u32 v6, v6, s12, v11
	s_delay_alu instid0(VALU_DEP_2) | instskip(SKIP_1) | instid1(VALU_DEP_3)
	v_mad_u32 v10, v10, s17, v13
	v_mov_b32_e32 v11, v7
	v_add_nc_u64_e32 v[12:13], s[2:3], v[6:7]
	s_delay_alu instid0(VALU_DEP_2)
	v_add_nc_u64_e32 v[10:11], s[2:3], v[10:11]
	v_mad_u32 v6, s13, s22, v4
	s_clause 0x1
	global_load_u8 v14, v[12:13], off
	global_load_u8 v15, v[10:11], off
	s_wait_xcnt 0x0
	v_mad_u32 v10, s18, s21, v5
	v_mov_b32_e32 v11, v7
	v_lshl_add_u64 v[12:13], v[6:7], 2, s[4:5]
	s_delay_alu instid0(VALU_DEP_2)
	v_lshl_add_u64 v[10:11], v[10:11], 2, s[4:5]
	s_wait_loadcnt 0x1
	v_cvt_f32_ubyte0_e32 v6, v14
	s_wait_loadcnt 0x0
	v_cvt_f32_ubyte0_e32 v14, v15
	s_clause 0x1
	global_store_b32 v[12:13], v6, off
	global_store_b32 v[10:11], v14, off
	s_cbranch_scc1 .LBB0_5
; %bb.6:
	s_cmp_lg_u32 s14, s15
	s_wait_xcnt 0x1
	v_mov_b32_e32 v6, s15
	s_cselect_b32 s10, -1, 0
	s_delay_alu instid0(SALU_CYCLE_1)
	s_or_not1_b32 s10, s10, exec_lo
	s_wait_xcnt 0x0
	s_or_b32 exec_lo, exec_lo, s7
	s_and_saveexec_b32 s7, s10
	s_cbranch_execnz .LBB0_9
	s_branch .LBB0_11
.LBB0_7:
	v_mov_b32_e32 v6, 0
	s_and_saveexec_b32 s7, s10
	s_cbranch_execnz .LBB0_9
	s_branch .LBB0_11
.LBB0_8:
	s_or_b32 exec_lo, exec_lo, s7
	s_and_saveexec_b32 s7, s10
	s_cbranch_execz .LBB0_11
.LBB0_9:
	s_delay_alu instid0(VALU_DEP_1) | instskip(SKIP_1) | instid1(VALU_DEP_2)
	v_mul_lo_u32 v1, s6, v6
	v_dual_mov_b32 v7, 0 :: v_dual_sub_nc_u32 v3, s14, v6
	v_add3_u32 v1, v1, s6, v9
	s_delay_alu instid0(VALU_DEP_1) | instskip(SKIP_3) | instid1(SALU_CYCLE_1)
	v_mad_u32 v1, s6, v1, v8
	s_lshl_b64 s[6:7], s[8:9], 1
	s_wait_kmcnt 0x0
	s_add_nc_u64 s[0:1], s[0:1], s[6:7]
	v_lshl_add_u64 v[4:5], v[6:7], 1, s[0:1]
	s_mov_b32 s0, 0
.LBB0_10:                               ; =>This Inner Loop Header: Depth=1
	global_load_u16 v6, v[4:5], off
	v_add_nc_u32_e32 v3, -1, v3
	s_wait_xcnt 0x0
	v_add_nc_u64_e32 v[4:5], 2, v[4:5]
	s_wait_loadcnt 0x0
	v_lshrrev_b16 v7, 8, v6
	v_bfe_i32 v6, v6, 0, 8
	s_delay_alu instid0(VALU_DEP_2) | instskip(NEXT) | instid1(VALU_DEP_1)
	v_bfe_i32 v7, v7, 0, 8
	v_dual_add_nc_u32 v6, v0, v6 :: v_dual_add_nc_u32 v7, v2, v7
	s_delay_alu instid0(VALU_DEP_1)
	v_mad_u32 v6, v7, s12, v6
	global_load_u8 v6, v6, s[2:3]
	s_wait_loadcnt 0x0
	v_cvt_f32_ubyte0_e32 v6, v6
	global_store_b32 v1, v6, s[4:5] scale_offset
	s_wait_xcnt 0x0
	v_add_nc_u32_e32 v1, s13, v1
	v_cmp_eq_u32_e32 vcc_lo, 0, v3
	s_or_b32 s0, vcc_lo, s0
	s_delay_alu instid0(SALU_CYCLE_1)
	s_and_not1_b32 exec_lo, exec_lo, s0
	s_cbranch_execnz .LBB0_10
.LBB0_11:
	s_endpgm
	.section	.rodata,"a",@progbits
	.p2align	6, 0x0
	.amdhsa_kernel _Z9get_block15HIP_vector_typeIjLj2EEPKhPKtPKjPfS0_S0_6Params
		.amdhsa_group_segment_fixed_size 0
		.amdhsa_private_segment_fixed_size 0
		.amdhsa_kernarg_size 344
		.amdhsa_user_sgpr_count 2
		.amdhsa_user_sgpr_dispatch_ptr 0
		.amdhsa_user_sgpr_queue_ptr 0
		.amdhsa_user_sgpr_kernarg_segment_ptr 1
		.amdhsa_user_sgpr_dispatch_id 0
		.amdhsa_user_sgpr_kernarg_preload_length 0
		.amdhsa_user_sgpr_kernarg_preload_offset 0
		.amdhsa_user_sgpr_private_segment_size 0
		.amdhsa_wavefront_size32 1
		.amdhsa_uses_dynamic_stack 0
		.amdhsa_enable_private_segment 0
		.amdhsa_system_sgpr_workgroup_id_x 1
		.amdhsa_system_sgpr_workgroup_id_y 1
		.amdhsa_system_sgpr_workgroup_id_z 0
		.amdhsa_system_sgpr_workgroup_info 0
		.amdhsa_system_vgpr_workitem_id 1
		.amdhsa_next_free_vgpr 16
		.amdhsa_next_free_sgpr 23
		.amdhsa_named_barrier_count 0
		.amdhsa_reserve_vcc 1
		.amdhsa_float_round_mode_32 0
		.amdhsa_float_round_mode_16_64 0
		.amdhsa_float_denorm_mode_32 3
		.amdhsa_float_denorm_mode_16_64 3
		.amdhsa_fp16_overflow 0
		.amdhsa_memory_ordered 1
		.amdhsa_forward_progress 1
		.amdhsa_inst_pref_size 9
		.amdhsa_round_robin_scheduling 0
		.amdhsa_exception_fp_ieee_invalid_op 0
		.amdhsa_exception_fp_denorm_src 0
		.amdhsa_exception_fp_ieee_div_zero 0
		.amdhsa_exception_fp_ieee_overflow 0
		.amdhsa_exception_fp_ieee_underflow 0
		.amdhsa_exception_fp_ieee_inexact 0
		.amdhsa_exception_int_div_zero 0
	.end_amdhsa_kernel
	.text
.Lfunc_end0:
	.size	_Z9get_block15HIP_vector_typeIjLj2EEPKhPKtPKjPfS0_S0_6Params, .Lfunc_end0-_Z9get_block15HIP_vector_typeIjLj2EEPKhPKtPKjPfS0_S0_6Params
                                        ; -- End function
	.set _Z9get_block15HIP_vector_typeIjLj2EEPKhPKtPKjPfS0_S0_6Params.num_vgpr, 16
	.set _Z9get_block15HIP_vector_typeIjLj2EEPKhPKtPKjPfS0_S0_6Params.num_agpr, 0
	.set _Z9get_block15HIP_vector_typeIjLj2EEPKhPKtPKjPfS0_S0_6Params.numbered_sgpr, 23
	.set _Z9get_block15HIP_vector_typeIjLj2EEPKhPKtPKjPfS0_S0_6Params.num_named_barrier, 0
	.set _Z9get_block15HIP_vector_typeIjLj2EEPKhPKtPKjPfS0_S0_6Params.private_seg_size, 0
	.set _Z9get_block15HIP_vector_typeIjLj2EEPKhPKtPKjPfS0_S0_6Params.uses_vcc, 1
	.set _Z9get_block15HIP_vector_typeIjLj2EEPKhPKtPKjPfS0_S0_6Params.uses_flat_scratch, 0
	.set _Z9get_block15HIP_vector_typeIjLj2EEPKhPKtPKjPfS0_S0_6Params.has_dyn_sized_stack, 0
	.set _Z9get_block15HIP_vector_typeIjLj2EEPKhPKtPKjPfS0_S0_6Params.has_recursion, 0
	.set _Z9get_block15HIP_vector_typeIjLj2EEPKhPKtPKjPfS0_S0_6Params.has_indirect_call, 0
	.section	.AMDGPU.csdata,"",@progbits
; Kernel info:
; codeLenInByte = 1136
; TotalNumSgprs: 25
; NumVgprs: 16
; ScratchSize: 0
; MemoryBound: 0
; FloatMode: 240
; IeeeMode: 1
; LDSByteSize: 0 bytes/workgroup (compile time only)
; SGPRBlocks: 0
; VGPRBlocks: 0
; NumSGPRsForWavesPerEU: 25
; NumVGPRsForWavesPerEU: 16
; NamedBarCnt: 0
; Occupancy: 16
; WaveLimiterHint : 1
; COMPUTE_PGM_RSRC2:SCRATCH_EN: 0
; COMPUTE_PGM_RSRC2:USER_SGPR: 2
; COMPUTE_PGM_RSRC2:TRAP_HANDLER: 0
; COMPUTE_PGM_RSRC2:TGID_X_EN: 1
; COMPUTE_PGM_RSRC2:TGID_Y_EN: 1
; COMPUTE_PGM_RSRC2:TGID_Z_EN: 0
; COMPUTE_PGM_RSRC2:TIDIG_COMP_CNT: 1
	.text
	.protected	_Z19hard_treshold_block15HIP_vector_typeIjLj2EEPfS1_PKjS0_6Paramsj ; -- Begin function _Z19hard_treshold_block15HIP_vector_typeIjLj2EEPfS1_PKjS0_6Paramsj
	.globl	_Z19hard_treshold_block15HIP_vector_typeIjLj2EEPfS1_PKjS0_6Paramsj
	.p2align	8
	.type	_Z19hard_treshold_block15HIP_vector_typeIjLj2EEPfS1_PKjS0_6Paramsj,@function
_Z19hard_treshold_block15HIP_vector_typeIjLj2EEPfS1_PKjS0_6Paramsj: ; @_Z19hard_treshold_block15HIP_vector_typeIjLj2EEPfS1_PKjS0_6Paramsj
; %bb.0:
	s_clause 0x2
	s_load_b96 s[4:6], s[0:1], 0x3c
	s_load_b64 s[8:9], s[0:1], 0x20
	s_load_b64 s[10:11], s[0:1], 0x0
	s_bfe_u32 s3, ttmp6, 0x4000c
	s_bfe_u32 s7, ttmp6, 0x40010
	s_add_co_i32 s3, s3, 1
	s_add_co_i32 s7, s7, 1
	s_and_b32 s2, ttmp6, 15
	s_bfe_u32 s12, ttmp6, 0x40004
	s_mul_i32 s3, ttmp9, s3
	s_mul_i32 s7, ttmp7, s7
	s_getreg_b32 s13, hwreg(HW_REG_IB_STS2, 6, 4)
	s_add_co_i32 s2, s2, s3
	s_add_co_i32 s12, s12, s7
	s_cmp_eq_u32 s13, 0
	s_cselect_b32 s7, ttmp7, s12
	s_cselect_b32 s2, ttmp9, s2
	s_wait_kmcnt 0x0
	s_mul_i32 s12, s4, s7
	s_add_co_i32 s13, s9, -1
	s_mul_i32 s3, s4, s2
	s_add_co_i32 s12, s12, s11
	s_add_co_i32 s11, s13, s4
	;; [unrolled: 1-line block ×3, first 2 shown]
	s_cmp_lt_u32 s12, s11
	s_cselect_b32 s10, s13, s12
	s_add_co_i32 s11, s8, -1
	s_delay_alu instid0(SALU_CYCLE_1) | instskip(NEXT) | instid1(SALU_CYCLE_1)
	s_add_co_i32 s4, s11, s4
	s_cmp_lt_u32 s3, s4
	s_cselect_b32 s4, s11, s3
	s_delay_alu instid0(SALU_CYCLE_1) | instskip(NEXT) | instid1(SALU_CYCLE_1)
	s_min_u32 s3, s3, s4
	s_cmp_lt_u32 s3, s8
	s_cselect_b32 s3, -1, 0
	s_min_u32 s4, s12, s10
	s_delay_alu instid0(SALU_CYCLE_1) | instskip(SKIP_1) | instid1(SALU_CYCLE_1)
	s_cmp_lt_u32 s4, s9
	s_cselect_b32 s4, -1, 0
	s_and_b32 s3, s3, s4
	s_delay_alu instid0(SALU_CYCLE_1)
	s_and_not1_b32 vcc_lo, exec_lo, s3
	s_mov_b32 s3, 0
	s_cbranch_vccnz .LBB1_75
; %bb.1:
	s_clause 0x3
	s_load_b32 s4, s[0:1], 0x48
	s_load_b64 s[8:9], s[0:1], 0x18
	s_load_b32 s10, s[0:1], 0x54
	s_load_b32 s13, s[0:1], 0x30
	v_and_b32_e32 v2, 0x3ff, v0
	v_bfe_u32 v0, v0, 10, 10
	s_wait_kmcnt 0x0
	s_mul_i32 s4, s4, s7
	s_delay_alu instid0(SALU_CYCLE_1)
	s_add_co_i32 s4, s4, s2
	s_and_b32 s11, s10, 0xffff
	s_load_b32 s7, s[8:9], s4 offset:0x0 scale_offset
	s_load_b64 s[14:15], s[0:1], 0x8
	v_mad_u32_u24 v2, v0, s11, v2
	s_lshr_b32 s12, s10, 16
	s_add_co_i32 s2, s13, 1
	s_mul_i32 s10, s12, s11
	s_delay_alu instid0(VALU_DEP_1) | instskip(SKIP_1) | instid1(SALU_CYCLE_1)
	v_dual_mov_b32 v1, 0 :: v_dual_lshlrev_b32 v0, 2, v2
	s_mul_i32 s2, s2, s10
	s_mul_i32 s2, s2, s4
	s_wait_kmcnt 0x0
	s_add_co_i32 s8, s7, 2
	s_delay_alu instid0(SALU_CYCLE_1)
	v_mul_lo_u32 v3, s8, v2
	s_lshl_b64 s[8:9], s[2:3], 2
	v_add_co_u32 v4, s2, s7, 1
	s_add_nc_u64 s[8:9], s[14:15], s[8:9]
	s_and_b32 vcc_lo, exec_lo, s2
	v_add_nc_u64_e32 v[0:1], s[8:9], v[0:1]
	v_readfirstlane_b32 s13, v4
	s_xor_b32 s14, s2, -1
	v_lshl_add_u32 v4, v3, 2, 0
	s_cbranch_vccnz .LBB1_11
; %bb.2:
	s_cmp_lt_u32 s13, 24
	s_cselect_b32 s8, -1, 0
	s_delay_alu instid0(SALU_CYCLE_1)
	s_and_b32 vcc_lo, exec_lo, s8
	s_cbranch_vccnz .LBB1_7
; %bb.3:
	s_cmp_lt_i32 s10, 0
	s_mov_b32 s16, 1
	s_cselect_b32 s8, -1, 0
	s_abs_i32 s9, s10
	s_delay_alu instid0(SALU_CYCLE_1)
	s_mul_hi_u32 s15, s9, s7
	s_mul_i32 s9, s9, s7
	s_cmp_lg_u32 s15, 0
	s_cselect_b32 s15, -1, 0
	s_cmp_lg_u32 s9, 0
	s_cselect_b32 s9, -1, 0
	s_delay_alu instid0(SALU_CYCLE_1) | instskip(NEXT) | instid1(SALU_CYCLE_1)
	s_and_b32 s8, s8, s9
	s_or_b32 s9, s8, s15
	s_mov_b32 s15, 0
	s_mov_b32 s8, -1
	s_and_not1_b32 vcc_lo, exec_lo, s9
	s_cbranch_vccz .LBB1_8
; %bb.4:
	v_mov_b32_e32 v5, v4
	s_and_b32 s15, s13, -2
	s_mov_b32 s17, s10
	s_mov_b32 s9, 0
	;; [unrolled: 1-line block ×4, first 2 shown]
.LBB1_5:                                ; =>This Inner Loop Header: Depth=1
	s_delay_alu instid0(SALU_CYCLE_1)
	s_mul_i32 s8, s19, s10
	s_mul_i32 s20, s16, s17
	s_mov_b32 s21, s9
	s_wait_xcnt 0x1
	v_lshl_add_u64 v[6:7], s[8:9], 2, v[0:1]
	s_wait_xcnt 0x0
	v_lshl_add_u64 v[8:9], s[20:21], 2, v[0:1]
	s_add_co_i32 s18, s18, -2
	s_add_co_i32 s19, s19, 2
	s_clause 0x1
	global_load_b32 v10, v[6:7], off
	global_load_b32 v11, v[8:9], off
	s_add_co_i32 s16, s16, 2
	s_cmp_lg_u32 s18, 0
	s_wait_loadcnt 0x0
	ds_store_2addr_b32 v5, v10, v11 offset1:1
	v_add_nc_u32_e32 v5, 8, v5
	s_cbranch_scc1 .LBB1_5
; %bb.6:
	s_cmp_lg_u32 s13, s15
	s_cselect_b32 s8, -1, 0
	s_branch .LBB1_8
.LBB1_7:
	s_mov_b32 s15, 0
.LBB1_8:
	s_and_b32 vcc_lo, exec_lo, s8
	s_cbranch_vccz .LBB1_11
; %bb.9:
	v_lshlrev_b32_e32 v5, 2, v3
	s_lshl_b32 s8, s15, 2
	s_mul_i32 s9, s15, s12
	s_sub_co_i32 s15, s13, s15
	s_delay_alu instid0(VALU_DEP_1)
	v_add3_u32 v5, 0, s8, v5
	s_mul_i32 s8, s9, s11
	s_mov_b32 s9, 0
.LBB1_10:                               ; =>This Inner Loop Header: Depth=1
	s_wait_xcnt 0x0
	v_lshl_add_u64 v[6:7], s[8:9], 2, v[0:1]
	s_add_co_i32 s15, s15, -1
	s_add_co_i32 s8, s8, s10
	s_cmp_eq_u32 s15, 0
	global_load_b32 v6, v[6:7], off
	s_wait_loadcnt 0x0
	ds_store_b32 v5, v6
	v_add_nc_u32_e32 v5, 4, v5
	s_cbranch_scc0 .LBB1_10
.LBB1_11:
	s_clz_i32_u32 s8, s13
	v_cndmask_b32_e64 v5, 0, 1, s14
	s_xor_b32 s8, s8, 31
	s_and_b32 s2, exec_lo, s2
	s_cselect_b32 s2, -1, s8
	s_mov_b32 s9, 0
	s_cmp_lg_u32 s2, 0
	s_cselect_b32 s8, -1, 0
	s_cmp_eq_u32 s2, 0
	s_cbranch_scc1 .LBB1_26
; %bb.12:
	s_wait_xcnt 0x0
	v_lshl_add_u32 v6, v3, 2, 0
	s_branch .LBB1_14
.LBB1_13:                               ;   in Loop: Header=BB1_14 Depth=1
	s_add_co_i32 s9, s9, 1
	s_delay_alu instid0(SALU_CYCLE_1)
	s_cmp_eq_u32 s9, s2
	s_cbranch_scc1 .LBB1_26
.LBB1_14:                               ; =>This Loop Header: Depth=1
                                        ;     Child Loop BB1_17 Depth 2
                                        ;       Child Loop BB1_20 Depth 3
                                        ;       Child Loop BB1_25 Depth 3
	s_and_not1_b32 vcc_lo, exec_lo, s14
	s_cbranch_vccnz .LBB1_13
; %bb.15:                               ;   in Loop: Header=BB1_14 Depth=1
	s_lshl_b32 s15, 1, s9
	s_lshl_b32 s16, 2, s9
	;; [unrolled: 1-line block ×4, first 2 shown]
	s_cmp_lt_u32 s9, 4
	s_bfm_b32 s21, s9, 0
	s_cselect_b32 s19, -1, 0
	s_cmp_gt_u32 s9, 3
	v_dual_add_nc_u32 v7, s17, v4 :: v_dual_mov_b32 v9, v4
	s_cselect_b32 s20, -1, 0
	s_cmp_gt_u32 s21, 0x3fffffff
	v_lshl_add_u32 v8, 4, s9, v6
	s_cselect_b32 s25, -1, 0
	s_bfm_b32 s21, s9, 2
	s_and_b32 s22, s15, 0x7ffffffe
	s_lshl_b32 s23, s16, 2
	s_mov_b32 s24, 0
	s_xor_b32 s25, s25, -1
	s_mov_b32 s26, 0
	s_branch .LBB1_17
.LBB1_16:                               ;   in Loop: Header=BB1_17 Depth=2
	s_or_b32 exec_lo, exec_lo, s27
	v_dual_add_nc_u32 v9, s23, v9 :: v_dual_add_nc_u32 v7, s23, v7
	s_add_co_i32 s26, s26, s16
	s_add_co_i32 s24, s24, 1
	s_cmp_ge_u32 s26, s13
	s_cbranch_scc1 .LBB1_13
.LBB1_17:                               ;   Parent Loop BB1_14 Depth=1
                                        ; =>  This Loop Header: Depth=2
                                        ;       Child Loop BB1_20 Depth 3
                                        ;       Child Loop BB1_25 Depth 3
	s_and_b32 vcc_lo, exec_lo, s20
	s_mov_b32 s28, s19
	s_cbranch_vccz .LBB1_23
; %bb.18:                               ;   in Loop: Header=BB1_17 Depth=2
	v_mad_u32 v10, s18, s24, v8
	s_mov_b32 s28, -1
	s_delay_alu instid0(VALU_DEP_1) | instskip(NEXT) | instid1(VALU_DEP_1)
	v_add_nc_u32_e32 v11, s21, v10
	v_cmp_ge_u32_e32 vcc_lo, v11, v10
	s_and_b32 s29, vcc_lo, s25
	s_delay_alu instid0(SALU_CYCLE_1)
	s_and_saveexec_b32 s27, s29
	s_cbranch_execz .LBB1_22
; %bb.19:                               ;   in Loop: Header=BB1_17 Depth=2
	v_mov_b32_e32 v10, v9
	s_mov_b32 s28, s22
.LBB1_20:                               ;   Parent Loop BB1_14 Depth=1
                                        ;     Parent Loop BB1_17 Depth=2
                                        ; =>    This Inner Loop Header: Depth=3
	s_delay_alu instid0(VALU_DEP_1)
	v_add_nc_u32_e32 v11, s17, v10
	s_add_co_i32 s28, s28, -2
	ds_load_2addr_b32 v[12:13], v10 offset1:1
	ds_load_2addr_b32 v[14:15], v11 offset1:1
	s_cmp_eq_u32 s28, 0
	s_wait_dscnt 0x0
	v_pk_add_f32 v[16:17], v[12:13], v[14:15]
	v_pk_add_f32 v[12:13], v[12:13], v[14:15] neg_lo:[0,1] neg_hi:[0,1]
	ds_store_2addr_b32 v10, v16, v17 offset1:1
	v_add_nc_u32_e32 v10, 8, v10
	ds_store_2addr_b32 v11, v12, v13 offset1:1
	s_cbranch_scc0 .LBB1_20
; %bb.21:                               ;   in Loop: Header=BB1_17 Depth=2
	s_xor_b32 s28, exec_lo, -1
.LBB1_22:                               ;   in Loop: Header=BB1_17 Depth=2
	s_or_b32 exec_lo, exec_lo, s27
.LBB1_23:                               ;   in Loop: Header=BB1_17 Depth=2
	s_and_saveexec_b32 s27, s28
	s_cbranch_execz .LBB1_16
; %bb.24:                               ;   in Loop: Header=BB1_17 Depth=2
	s_mov_b32 s28, 0
	s_mov_b32 s29, s15
.LBB1_25:                               ;   Parent Loop BB1_14 Depth=1
                                        ;     Parent Loop BB1_17 Depth=2
                                        ; =>    This Inner Loop Header: Depth=3
	v_dual_add_nc_u32 v10, s28, v9 :: v_dual_add_nc_u32 v11, s28, v7
	s_add_co_i32 s29, s29, -1
	s_add_co_i32 s28, s28, 4
	s_cmp_eq_u32 s29, 0
	ds_load_b32 v12, v10
	ds_load_b32 v13, v11
	s_wait_dscnt 0x0
	v_dual_add_f32 v14, v12, v13 :: v_dual_sub_f32 v12, v12, v13
	ds_store_b32 v10, v14
	ds_store_b32 v11, v12
	s_cbranch_scc0 .LBB1_25
	s_branch .LBB1_16
.LBB1_26:
	v_cmp_ne_u32_e32 vcc_lo, 1, v5
	s_wait_xcnt 0x0
	v_mov_b32_e32 v6, 0
	s_cbranch_vccnz .LBB1_42
; %bb.27:
	s_mul_i32 s6, s13, s6
	v_mov_b32_e32 v6, 0
	s_cvt_f32_u32 s6, s6
	s_delay_alu instid0(SALU_CYCLE_3) | instskip(SKIP_1) | instid1(SALU_CYCLE_2)
	s_mul_f32 s9, s6, 0x4f800000
	s_cmp_lt_f32 s6, 0xf800000
	s_cselect_b32 s14, s9, s6
	s_delay_alu instid0(SALU_CYCLE_1) | instskip(SKIP_1) | instid1(TRANS32_DEP_1)
	v_s_sqrt_f32 s9, s14
	s_mov_b32 s16, s14
	s_add_co_i32 s15, s9, -1
	s_delay_alu instid0(SALU_CYCLE_1) | instskip(NEXT) | instid1(SALU_CYCLE_1)
	s_xor_b32 s17, s15, 0x80000000
	s_fmac_f32 s16, s17, s9
	s_mov_b32 s17, s14
	s_delay_alu instid0(SALU_CYCLE_2) | instskip(SKIP_2) | instid1(SALU_CYCLE_1)
	s_cmp_le_f32 s16, 0
	s_cselect_b32 s15, s15, s9
	s_add_co_i32 s16, s9, 1
	s_xor_b32 s18, s16, 0x80000000
	s_delay_alu instid0(SALU_CYCLE_1) | instskip(SKIP_1) | instid1(SALU_CYCLE_2)
	s_fmac_f32 s17, s18, s9
	s_mov_b32 s9, -1
	s_cmp_gt_f32 s17, 0
	s_cselect_b32 s15, s16, s15
	s_cmp_lt_f32 s6, 0xf800000
	s_mul_f32 s6, s15, 0x37800000
	v_cmp_class_f32_e64 s16, s14, 0x260
	s_delay_alu instid0(SALU_CYCLE_2)
	s_cselect_b32 s6, s6, s15
	s_and_b32 s15, s16, exec_lo
	s_cselect_b32 s6, s14, s6
	s_cmp_eq_u32 s7, 0
	s_mul_f32 s5, s5, s6
	s_mov_b32 s6, 0
	s_cbranch_scc1 .LBB1_35
; %bb.28:
	v_dual_mov_b32 v6, 0 :: v_dual_mov_b32 v7, v4
	v_dual_mov_b32 v8, 0 :: v_dual_mov_b32 v9, 0
	s_and_b32 s6, s13, -2
	s_mov_b32 s9, s5
	s_mov_b32 s14, s6
	s_branch .LBB1_30
.LBB1_29:                               ;   in Loop: Header=BB1_30 Depth=1
	s_or_b32 exec_lo, exec_lo, s17
	s_xor_b32 s16, s16, -1
	s_xor_b32 s15, s15, -1
	v_cndmask_b32_e64 v10, 0, 1, s16
	v_cndmask_b32_e64 v11, 0, 1, s15
	v_add_nc_u32_e32 v7, 8, v7
	s_add_co_i32 s14, s14, -2
	s_delay_alu instid0(SALU_CYCLE_1) | instskip(NEXT) | instid1(VALU_DEP_2)
	s_cmp_lg_u32 s14, 0
	v_dual_add_nc_u32 v8, v8, v10 :: v_dual_add_nc_u32 v9, v9, v11
	s_cbranch_scc0 .LBB1_34
.LBB1_30:                               ; =>This Inner Loop Header: Depth=1
	ds_load_2addr_b32 v[10:11], v7 offset1:1
	s_wait_dscnt 0x0
	v_cmp_lt_f32_e64 s15, |v11|, s9
	v_cmp_lt_f32_e64 s16, |v10|, s5
	s_and_saveexec_b32 s17, s16
; %bb.31:                               ;   in Loop: Header=BB1_30 Depth=1
	ds_store_b32 v7, v6
; %bb.32:                               ;   in Loop: Header=BB1_30 Depth=1
	s_or_b32 exec_lo, exec_lo, s17
	s_and_saveexec_b32 s17, s15
	s_cbranch_execz .LBB1_29
; %bb.33:                               ;   in Loop: Header=BB1_30 Depth=1
	ds_store_b32 v7, v6 offset:4
	s_branch .LBB1_29
.LBB1_34:
	s_delay_alu instid0(VALU_DEP_1)
	v_add_nc_u32_e32 v6, v8, v9
	s_cmp_lg_u32 s13, s6
	s_cselect_b32 s9, -1, 0
.LBB1_35:
	s_delay_alu instid0(SALU_CYCLE_1)
	s_and_b32 vcc_lo, exec_lo, s9
	s_cbranch_vccz .LBB1_42
; %bb.36:
	v_dual_mov_b32 v8, 0 :: v_dual_lshlrev_b32 v7, 2, v3
	s_lshl_b32 s9, s6, 2
	s_sub_co_i32 s6, s13, s6
	s_delay_alu instid0(VALU_DEP_1)
	v_add3_u32 v7, 0, s9, v7
	s_branch .LBB1_38
.LBB1_37:                               ;   in Loop: Header=BB1_38 Depth=1
	s_or_b32 exec_lo, exec_lo, s9
	v_add_nc_u32_e32 v7, 4, v7
	s_add_co_i32 s6, s6, -1
	s_delay_alu instid0(SALU_CYCLE_1)
	s_cmp_eq_u32 s6, 0
	s_cbranch_scc1 .LBB1_42
.LBB1_38:                               ; =>This Inner Loop Header: Depth=1
	ds_load_b32 v9, v7
	s_wait_dscnt 0x0
	v_cmp_nlt_f32_e64 s9, |v9|, s5
	s_and_saveexec_b32 s14, s9
	s_delay_alu instid0(SALU_CYCLE_1)
	s_xor_b32 s9, exec_lo, s14
; %bb.39:                               ;   in Loop: Header=BB1_38 Depth=1
	v_add_nc_u32_e32 v6, 1, v6
; %bb.40:                               ;   in Loop: Header=BB1_38 Depth=1
	s_and_not1_saveexec_b32 s9, s9
	s_cbranch_execz .LBB1_37
; %bb.41:                               ;   in Loop: Header=BB1_38 Depth=1
	ds_store_b32 v7, v8
	s_branch .LBB1_37
.LBB1_42:
	s_and_not1_b32 vcc_lo, exec_lo, s8
	s_cbranch_vccnz .LBB1_57
; %bb.43:
	v_lshl_add_u32 v7, v3, 2, 0
	s_mov_b32 s5, 0
	s_branch .LBB1_45
.LBB1_44:                               ;   in Loop: Header=BB1_45 Depth=1
	s_add_co_i32 s5, s5, 1
	s_delay_alu instid0(SALU_CYCLE_1)
	s_cmp_eq_u32 s5, s2
	s_cbranch_scc1 .LBB1_57
.LBB1_45:                               ; =>This Loop Header: Depth=1
                                        ;     Child Loop BB1_48 Depth 2
                                        ;       Child Loop BB1_51 Depth 3
                                        ;       Child Loop BB1_56 Depth 3
	v_cmp_ne_u32_e32 vcc_lo, 1, v5
	s_cbranch_vccnz .LBB1_44
; %bb.46:                               ;   in Loop: Header=BB1_45 Depth=1
	s_lshl_b32 s6, 1, s5
	s_lshl_b32 s8, 2, s5
	;; [unrolled: 1-line block ×4, first 2 shown]
	s_cmp_lt_u32 s5, 4
	s_bfm_b32 s17, s5, 0
	s_cselect_b32 s15, -1, 0
	s_cmp_gt_u32 s5, 3
	v_dual_add_nc_u32 v8, s9, v4 :: v_dual_mov_b32 v10, v4
	s_cselect_b32 s16, -1, 0
	s_cmp_gt_u32 s17, 0x3fffffff
	v_lshl_add_u32 v9, 4, s5, v7
	s_cselect_b32 s21, -1, 0
	s_bfm_b32 s17, s5, 2
	s_and_b32 s18, s6, 0x7ffffffe
	s_lshl_b32 s19, s8, 2
	s_mov_b32 s20, 0
	s_xor_b32 s21, s21, -1
	s_mov_b32 s22, 0
	s_branch .LBB1_48
.LBB1_47:                               ;   in Loop: Header=BB1_48 Depth=2
	s_or_b32 exec_lo, exec_lo, s23
	v_dual_add_nc_u32 v10, s19, v10 :: v_dual_add_nc_u32 v8, s19, v8
	s_add_co_i32 s22, s22, s8
	s_add_co_i32 s20, s20, 1
	s_cmp_ge_u32 s22, s13
	s_cbranch_scc1 .LBB1_44
.LBB1_48:                               ;   Parent Loop BB1_45 Depth=1
                                        ; =>  This Loop Header: Depth=2
                                        ;       Child Loop BB1_51 Depth 3
                                        ;       Child Loop BB1_56 Depth 3
	s_and_b32 vcc_lo, exec_lo, s16
	s_mov_b32 s24, s15
	s_cbranch_vccz .LBB1_54
; %bb.49:                               ;   in Loop: Header=BB1_48 Depth=2
	v_mad_u32 v11, s14, s20, v9
	s_mov_b32 s24, -1
	s_delay_alu instid0(VALU_DEP_1) | instskip(NEXT) | instid1(VALU_DEP_1)
	v_add_nc_u32_e32 v12, s17, v11
	v_cmp_ge_u32_e32 vcc_lo, v12, v11
	s_and_b32 s25, vcc_lo, s21
	s_delay_alu instid0(SALU_CYCLE_1)
	s_and_saveexec_b32 s23, s25
	s_cbranch_execz .LBB1_53
; %bb.50:                               ;   in Loop: Header=BB1_48 Depth=2
	v_mov_b32_e32 v11, v10
	s_mov_b32 s24, s18
.LBB1_51:                               ;   Parent Loop BB1_45 Depth=1
                                        ;     Parent Loop BB1_48 Depth=2
                                        ; =>    This Inner Loop Header: Depth=3
	s_delay_alu instid0(VALU_DEP_1)
	v_add_nc_u32_e32 v18, s9, v11
	s_add_co_i32 s24, s24, -2
	ds_load_2addr_b32 v[12:13], v11 offset1:1
	ds_load_2addr_b32 v[14:15], v18 offset1:1
	s_cmp_eq_u32 s24, 0
	s_wait_dscnt 0x0
	v_pk_add_f32 v[16:17], v[12:13], v[14:15]
	v_pk_add_f32 v[12:13], v[12:13], v[14:15] neg_lo:[0,1] neg_hi:[0,1]
	ds_store_2addr_b32 v11, v16, v17 offset1:1
	v_add_nc_u32_e32 v11, 8, v11
	ds_store_2addr_b32 v18, v12, v13 offset1:1
	s_cbranch_scc0 .LBB1_51
; %bb.52:                               ;   in Loop: Header=BB1_48 Depth=2
	s_xor_b32 s24, exec_lo, -1
.LBB1_53:                               ;   in Loop: Header=BB1_48 Depth=2
	s_or_b32 exec_lo, exec_lo, s23
.LBB1_54:                               ;   in Loop: Header=BB1_48 Depth=2
	s_and_saveexec_b32 s23, s24
	s_cbranch_execz .LBB1_47
; %bb.55:                               ;   in Loop: Header=BB1_48 Depth=2
	s_mov_b32 s24, 0
	s_mov_b32 s25, s6
.LBB1_56:                               ;   Parent Loop BB1_45 Depth=1
                                        ;     Parent Loop BB1_48 Depth=2
                                        ; =>    This Inner Loop Header: Depth=3
	v_dual_add_nc_u32 v11, s24, v10 :: v_dual_add_nc_u32 v12, s24, v8
	s_add_co_i32 s25, s25, -1
	s_add_co_i32 s24, s24, 4
	s_cmp_eq_u32 s25, 0
	ds_load_b32 v13, v11
	ds_load_b32 v14, v12
	s_wait_dscnt 0x0
	v_dual_add_f32 v15, v13, v14 :: v_dual_sub_f32 v13, v13, v14
	ds_store_b32 v11, v15
	ds_store_b32 v12, v13
	s_cbranch_scc0 .LBB1_56
	s_branch .LBB1_47
.LBB1_57:
	v_cmp_ne_u32_e32 vcc_lo, 1, v5
	s_cbranch_vccnz .LBB1_67
; %bb.58:
	s_cmp_lt_u32 s13, 12
	s_cvt_f32_u32 s5, s13
	s_cselect_b32 s2, -1, 0
	s_delay_alu instid0(SALU_CYCLE_1)
	s_and_b32 vcc_lo, exec_lo, s2
	s_cbranch_vccnz .LBB1_63
; %bb.59:
	s_cmp_lt_i32 s10, 0
	s_mov_b32 s9, 1
	s_cselect_b32 s2, -1, 0
	s_abs_i32 s6, s10
	s_delay_alu instid0(SALU_CYCLE_1)
	s_mul_hi_u32 s8, s6, s7
	s_mul_i32 s6, s6, s7
	s_cmp_lg_u32 s8, 0
	s_mov_b32 s8, 0
	s_cselect_b32 s7, -1, 0
	s_cmp_lg_u32 s6, 0
	s_cselect_b32 s6, -1, 0
	s_delay_alu instid0(SALU_CYCLE_1) | instskip(NEXT) | instid1(SALU_CYCLE_1)
	s_and_b32 s2, s2, s6
	s_or_b32 s6, s2, s7
	s_mov_b32 s2, -1
	s_and_not1_b32 vcc_lo, exec_lo, s6
	s_cbranch_vccz .LBB1_64
; %bb.60:
	s_and_b32 s8, s13, -2
	s_mov_b32 s14, s5
	s_mov_b32 s15, s10
	;; [unrolled: 1-line block ×5, first 2 shown]
.LBB1_61:                               ; =>This Inner Loop Header: Depth=1
	ds_load_2addr_b32 v[8:9], v4 offset1:1
	s_mul_i32 s6, s17, s10
	s_mul_i32 s18, s9, s15
	s_mov_b32 s19, s7
	v_add_nc_u32_e32 v4, 8, v4
	s_add_co_i32 s16, s16, -2
	s_add_co_i32 s17, s17, 2
	s_add_co_i32 s9, s9, 2
	s_cmp_lg_u32 s16, 0
	s_wait_dscnt 0x0
	s_wait_xcnt 0x0
	v_div_scale_f32 v5, null, s14, s14, v9
	v_div_scale_f32 v7, null, s5, s5, v8
	v_div_scale_f32 v10, vcc_lo, v9, s14, v9
	s_delay_alu instid0(VALU_DEP_3) | instskip(NEXT) | instid1(VALU_DEP_2)
	v_rcp_f32_e32 v11, v5
	v_rcp_f32_e32 v12, v7
	v_div_scale_f32 v13, s2, v8, s5, v8
	s_delay_alu instid0(TRANS32_DEP_2) | instskip(NEXT) | instid1(TRANS32_DEP_1)
	v_fma_f32 v14, -v5, v11, 1.0
	v_fma_f32 v15, -v7, v12, 1.0
	s_delay_alu instid0(VALU_DEP_1) | instskip(NEXT) | instid1(VALU_DEP_1)
	v_dual_fmac_f32 v11, v14, v11 :: v_dual_fmac_f32 v12, v15, v12
	v_dual_mul_f32 v14, v10, v11 :: v_dual_mul_f32 v15, v13, v12
	s_delay_alu instid0(VALU_DEP_1) | instskip(NEXT) | instid1(VALU_DEP_1)
	v_dual_fma_f32 v16, -v5, v14, v10 :: v_dual_fma_f32 v17, -v7, v15, v13
	v_dual_fmac_f32 v14, v16, v11 :: v_dual_fmac_f32 v15, v17, v12
	s_delay_alu instid0(VALU_DEP_1) | instskip(NEXT) | instid1(VALU_DEP_1)
	v_dual_fma_f32 v5, -v5, v14, v10 :: v_dual_fma_f32 v7, -v7, v15, v13
	v_div_fmas_f32 v5, v5, v11, v14
	s_mov_b32 vcc_lo, s2
	v_lshl_add_u64 v[10:11], s[6:7], 2, v[0:1]
	s_delay_alu instid0(VALU_DEP_3) | instskip(SKIP_2) | instid1(VALU_DEP_3)
	v_div_fmas_f32 v7, v7, v12, v15
	v_lshl_add_u64 v[12:13], s[18:19], 2, v[0:1]
	v_div_fixup_f32 v5, v5, s14, v9
	v_div_fixup_f32 v7, v7, s5, v8
	s_clause 0x1
	global_store_b32 v[10:11], v7, off
	global_store_b32 v[12:13], v5, off
	s_cbranch_scc1 .LBB1_61
; %bb.62:
	s_cmp_lg_u32 s13, s8
	s_cselect_b32 s2, -1, 0
	s_branch .LBB1_64
.LBB1_63:
	s_mov_b32 s8, 0
.LBB1_64:
	s_and_b32 vcc_lo, exec_lo, s2
	s_cbranch_vccz .LBB1_67
; %bb.65:
	v_lshlrev_b32_e32 v3, 2, v3
	s_lshl_b32 s2, s8, 2
	s_mul_i32 s6, s8, s12
	s_mov_b32 s7, 0
	s_mul_i32 s6, s6, s11
	v_add3_u32 v3, 0, s2, v3
	s_sub_co_i32 s2, s13, s8
.LBB1_66:                               ; =>This Inner Loop Header: Depth=1
	s_wait_xcnt 0x0
	ds_load_b32 v7, v3
	s_add_co_i32 s2, s2, -1
	v_add_nc_u32_e32 v3, 4, v3
	s_wait_dscnt 0x0
	v_div_scale_f32 v4, null, s5, s5, v7
	v_div_scale_f32 v9, vcc_lo, v7, s5, v7
	s_wait_xcnt 0x0
	s_delay_alu instid0(VALU_DEP_2) | instskip(SKIP_1) | instid1(TRANS32_DEP_1)
	v_rcp_f32_e32 v5, v4
	v_nop
	v_fma_f32 v8, -v4, v5, 1.0
	s_delay_alu instid0(VALU_DEP_1) | instskip(NEXT) | instid1(VALU_DEP_1)
	v_fmac_f32_e32 v5, v8, v5
	v_mul_f32_e32 v8, v9, v5
	s_delay_alu instid0(VALU_DEP_1) | instskip(NEXT) | instid1(VALU_DEP_1)
	v_fma_f32 v10, -v4, v8, v9
	v_fmac_f32_e32 v8, v10, v5
	s_delay_alu instid0(VALU_DEP_1) | instskip(NEXT) | instid1(VALU_DEP_1)
	v_fma_f32 v4, -v4, v8, v9
	v_div_fmas_f32 v8, v4, v5, v8
	v_lshl_add_u64 v[4:5], s[6:7], 2, v[0:1]
	s_add_co_i32 s6, s6, s10
	s_cmp_eq_u32 s2, 0
	s_delay_alu instid0(VALU_DEP_2)
	v_div_fixup_f32 v7, v8, s5, v7
	global_store_b32 v[4:5], v7, off
	s_cbranch_scc0 .LBB1_66
.LBB1_67:
	s_wait_xcnt 0x0
	v_mbcnt_lo_u32_b32 v5, -1, 0
	s_mov_b32 s2, exec_lo
	s_wait_storecnt_dscnt 0x0
	s_barrier_signal -1
	s_barrier_wait -1
	v_lshl_or_b32 v0, v5, 2, 64
	v_cmp_gt_u32_e32 vcc_lo, 24, v5
	ds_bpermute_b32 v3, v0, v6
	v_cndmask_b32_e64 v1, 0, 8, vcc_lo
	v_cmp_gt_u32_e32 vcc_lo, 28, v5
	s_delay_alu instid0(VALU_DEP_2)
	v_add_lshl_u32 v1, v1, v5, 2
	s_wait_dscnt 0x0
	v_add_nc_u32_e32 v4, v3, v6
	v_cndmask_b32_e64 v3, 0, 4, vcc_lo
	v_cmp_gt_u32_e32 vcc_lo, 30, v5
	ds_bpermute_b32 v6, v1, v4
	v_add_lshl_u32 v3, v3, v5, 2
	s_wait_dscnt 0x0
	v_add_nc_u32_e32 v6, v6, v4
	v_cndmask_b32_e64 v4, 0, 2, vcc_lo
	v_cmp_ne_u32_e32 vcc_lo, 31, v5
	ds_bpermute_b32 v7, v3, v6
	v_add_lshl_u32 v4, v4, v5, 2
	v_add_co_ci_u32_e64 v5, null, 0, v5, vcc_lo
	s_wait_dscnt 0x0
	s_delay_alu instid0(VALU_DEP_1)
	v_dual_lshlrev_b32 v5, 2, v5 :: v_dual_add_nc_u32 v6, v7, v6
	ds_bpermute_b32 v7, v4, v6
	s_wait_dscnt 0x0
	v_add_nc_u32_e32 v7, v7, v6
	v_and_b32_e32 v6, 31, v2
	ds_bpermute_b32 v8, v5, v7
	v_cmpx_eq_u32_e32 0, v6
	s_cbranch_execz .LBB1_69
; %bb.68:
	s_wait_dscnt 0x0
	v_dual_lshrrev_b32 v9, 3, v2 :: v_dual_add_nc_u32 v7, v8, v7
	s_delay_alu instid0(VALU_DEP_1)
	v_add_nc_u32_e32 v8, 0, v9
	ds_store_b32 v8, v7
.LBB1_69:
	s_or_b32 exec_lo, exec_lo, s2
	s_ashr_i32 s2, s10, 31
	v_mov_b32_e32 v7, 0
	s_lshr_b32 s2, s2, 27
	s_wait_dscnt 0x0
	s_add_co_i32 s2, s10, s2
	s_barrier_signal -1
	s_ashr_i32 s2, s2, 5
	s_barrier_wait -1
	v_cmp_gt_i32_e32 vcc_lo, s2, v2
	s_and_saveexec_b32 s2, vcc_lo
; %bb.70:
	v_lshl_add_u32 v6, v6, 2, 0
	ds_load_b32 v7, v6
; %bb.71:
	s_or_b32 exec_lo, exec_lo, s2
	s_delay_alu instid0(SALU_CYCLE_1)
	s_mov_b32 s2, exec_lo
	v_cmpx_gt_u32_e32 32, v2
	s_cbranch_execz .LBB1_73
; %bb.72:
	s_wait_dscnt 0x0
	ds_bpermute_b32 v0, v0, v7
	s_wait_dscnt 0x0
	v_add_nc_u32_e32 v0, v0, v7
	ds_bpermute_b32 v1, v1, v0
	s_wait_dscnt 0x0
	v_add_nc_u32_e32 v0, v1, v0
	;; [unrolled: 3-line block ×5, first 2 shown]
.LBB1_73:
	s_or_b32 exec_lo, exec_lo, s2
	s_delay_alu instid0(SALU_CYCLE_1)
	s_mov_b32 s2, exec_lo
	v_cmpx_eq_u32_e32 0, v2
	s_cbranch_execz .LBB1_75
; %bb.74:
	s_wait_dscnt 0x0
	v_cvt_f32_u32_e32 v0, v7
	s_load_b64 s[0:1], s[0:1], 0x10
	s_mov_b32 s5, s3
	s_delay_alu instid0(SALU_CYCLE_1) | instskip(NEXT) | instid1(VALU_DEP_1)
	s_lshl_b64 s[2:3], s[4:5], 2
	v_cvt_u32_f32_e32 v0, v0
	s_delay_alu instid0(VALU_DEP_1) | instskip(NEXT) | instid1(VALU_DEP_1)
	v_max_u32_e32 v0, 1, v0
	v_cvt_f32_u32_e32 v0, v0
	s_delay_alu instid0(VALU_DEP_1) | instskip(SKIP_3) | instid1(VALU_DEP_2)
	v_div_scale_f32 v1, null, v0, v0, 1.0
	v_div_scale_f32 v4, vcc_lo, 1.0, v0, 1.0
	s_wait_kmcnt 0x0
	s_add_nc_u64 s[0:1], s[0:1], s[2:3]
	v_rcp_f32_e32 v2, v1
	v_nop
	s_delay_alu instid0(TRANS32_DEP_1) | instskip(NEXT) | instid1(VALU_DEP_1)
	v_fma_f32 v3, -v1, v2, 1.0
	v_fmac_f32_e32 v2, v3, v2
	s_delay_alu instid0(VALU_DEP_1) | instskip(NEXT) | instid1(VALU_DEP_1)
	v_mul_f32_e32 v3, v4, v2
	v_fma_f32 v5, -v1, v3, v4
	s_delay_alu instid0(VALU_DEP_1) | instskip(NEXT) | instid1(VALU_DEP_1)
	v_fmac_f32_e32 v3, v5, v2
	v_fma_f32 v1, -v1, v3, v4
	s_delay_alu instid0(VALU_DEP_1) | instskip(NEXT) | instid1(VALU_DEP_1)
	v_div_fmas_f32 v1, v1, v2, v3
	v_div_fixup_f32 v0, v1, v0, 1.0
	v_mov_b32_e32 v1, 0
	global_store_b32 v1, v0, s[0:1]
.LBB1_75:
	s_endpgm
	.section	.rodata,"a",@progbits
	.p2align	6, 0x0
	.amdhsa_kernel _Z19hard_treshold_block15HIP_vector_typeIjLj2EEPfS1_PKjS0_6Paramsj
		.amdhsa_group_segment_fixed_size 0
		.amdhsa_private_segment_fixed_size 0
		.amdhsa_kernarg_size 328
		.amdhsa_user_sgpr_count 2
		.amdhsa_user_sgpr_dispatch_ptr 0
		.amdhsa_user_sgpr_queue_ptr 0
		.amdhsa_user_sgpr_kernarg_segment_ptr 1
		.amdhsa_user_sgpr_dispatch_id 0
		.amdhsa_user_sgpr_kernarg_preload_length 0
		.amdhsa_user_sgpr_kernarg_preload_offset 0
		.amdhsa_user_sgpr_private_segment_size 0
		.amdhsa_wavefront_size32 1
		.amdhsa_uses_dynamic_stack 0
		.amdhsa_enable_private_segment 0
		.amdhsa_system_sgpr_workgroup_id_x 1
		.amdhsa_system_sgpr_workgroup_id_y 1
		.amdhsa_system_sgpr_workgroup_id_z 0
		.amdhsa_system_sgpr_workgroup_info 0
		.amdhsa_system_vgpr_workitem_id 1
		.amdhsa_next_free_vgpr 19
		.amdhsa_next_free_sgpr 30
		.amdhsa_named_barrier_count 0
		.amdhsa_reserve_vcc 1
		.amdhsa_float_round_mode_32 0
		.amdhsa_float_round_mode_16_64 0
		.amdhsa_float_denorm_mode_32 3
		.amdhsa_float_denorm_mode_16_64 3
		.amdhsa_fp16_overflow 0
		.amdhsa_memory_ordered 1
		.amdhsa_forward_progress 1
		.amdhsa_inst_pref_size 26
		.amdhsa_round_robin_scheduling 0
		.amdhsa_exception_fp_ieee_invalid_op 0
		.amdhsa_exception_fp_denorm_src 0
		.amdhsa_exception_fp_ieee_div_zero 0
		.amdhsa_exception_fp_ieee_overflow 0
		.amdhsa_exception_fp_ieee_underflow 0
		.amdhsa_exception_fp_ieee_inexact 0
		.amdhsa_exception_int_div_zero 0
	.end_amdhsa_kernel
	.text
.Lfunc_end1:
	.size	_Z19hard_treshold_block15HIP_vector_typeIjLj2EEPfS1_PKjS0_6Paramsj, .Lfunc_end1-_Z19hard_treshold_block15HIP_vector_typeIjLj2EEPfS1_PKjS0_6Paramsj
                                        ; -- End function
	.set _Z19hard_treshold_block15HIP_vector_typeIjLj2EEPfS1_PKjS0_6Paramsj.num_vgpr, 19
	.set _Z19hard_treshold_block15HIP_vector_typeIjLj2EEPfS1_PKjS0_6Paramsj.num_agpr, 0
	.set _Z19hard_treshold_block15HIP_vector_typeIjLj2EEPfS1_PKjS0_6Paramsj.numbered_sgpr, 30
	.set _Z19hard_treshold_block15HIP_vector_typeIjLj2EEPfS1_PKjS0_6Paramsj.num_named_barrier, 0
	.set _Z19hard_treshold_block15HIP_vector_typeIjLj2EEPfS1_PKjS0_6Paramsj.private_seg_size, 0
	.set _Z19hard_treshold_block15HIP_vector_typeIjLj2EEPfS1_PKjS0_6Paramsj.uses_vcc, 1
	.set _Z19hard_treshold_block15HIP_vector_typeIjLj2EEPfS1_PKjS0_6Paramsj.uses_flat_scratch, 0
	.set _Z19hard_treshold_block15HIP_vector_typeIjLj2EEPfS1_PKjS0_6Paramsj.has_dyn_sized_stack, 0
	.set _Z19hard_treshold_block15HIP_vector_typeIjLj2EEPfS1_PKjS0_6Paramsj.has_recursion, 0
	.set _Z19hard_treshold_block15HIP_vector_typeIjLj2EEPfS1_PKjS0_6Paramsj.has_indirect_call, 0
	.section	.AMDGPU.csdata,"",@progbits
; Kernel info:
; codeLenInByte = 3296
; TotalNumSgprs: 32
; NumVgprs: 19
; ScratchSize: 0
; MemoryBound: 0
; FloatMode: 240
; IeeeMode: 1
; LDSByteSize: 0 bytes/workgroup (compile time only)
; SGPRBlocks: 0
; VGPRBlocks: 1
; NumSGPRsForWavesPerEU: 32
; NumVGPRsForWavesPerEU: 19
; NamedBarCnt: 0
; Occupancy: 16
; WaveLimiterHint : 0
; COMPUTE_PGM_RSRC2:SCRATCH_EN: 0
; COMPUTE_PGM_RSRC2:USER_SGPR: 2
; COMPUTE_PGM_RSRC2:TRAP_HANDLER: 0
; COMPUTE_PGM_RSRC2:TGID_X_EN: 1
; COMPUTE_PGM_RSRC2:TGID_Y_EN: 1
; COMPUTE_PGM_RSRC2:TGID_Z_EN: 0
; COMPUTE_PGM_RSRC2:TIDIG_COMP_CNT: 1
	.text
	.protected	_Z15aggregate_block15HIP_vector_typeIjLj2EEPKfS2_PKtS2_PfS5_PKjS0_S0_6Params ; -- Begin function _Z15aggregate_block15HIP_vector_typeIjLj2EEPKfS2_PKtS2_PfS5_PKjS0_S0_6Params
	.globl	_Z15aggregate_block15HIP_vector_typeIjLj2EEPKfS2_PKtS2_PfS5_PKjS0_S0_6Params
	.p2align	8
	.type	_Z15aggregate_block15HIP_vector_typeIjLj2EEPKfS2_PKtS2_PfS5_PKjS0_S0_6Params,@function
_Z15aggregate_block15HIP_vector_typeIjLj2EEPKfS2_PKtS2_PfS5_PKjS0_S0_6Params: ; @_Z15aggregate_block15HIP_vector_typeIjLj2EEPKfS2_PKtS2_PfS5_PKjS0_S0_6Params
; %bb.0:
	s_clause 0x2
	s_load_b32 s3, s[0:1], 0x64
	s_load_b64 s[6:7], s[0:1], 0x48
	s_load_b64 s[8:9], s[0:1], 0x0
	s_bfe_u32 s4, ttmp6, 0x4000c
	s_bfe_u32 s5, ttmp6, 0x40010
	s_add_co_i32 s4, s4, 1
	s_add_co_i32 s5, s5, 1
	s_and_b32 s2, ttmp6, 15
	s_bfe_u32 s10, ttmp6, 0x40004
	s_mul_i32 s4, ttmp9, s4
	s_mul_i32 s5, ttmp7, s5
	s_getreg_b32 s11, hwreg(HW_REG_IB_STS2, 6, 4)
	s_add_co_i32 s2, s2, s4
	s_add_co_i32 s10, s10, s5
	s_cmp_eq_u32 s11, 0
	s_cselect_b32 s4, ttmp7, s10
	s_cselect_b32 s2, ttmp9, s2
	s_wait_kmcnt 0x0
	s_mul_i32 s10, s3, s4
	s_add_co_i32 s11, s7, -1
	s_mul_i32 s5, s3, s2
	s_add_co_i32 s10, s10, s9
	s_add_co_i32 s9, s11, s3
	;; [unrolled: 1-line block ×3, first 2 shown]
	s_cmp_lt_u32 s10, s9
	s_cselect_b32 s8, s11, s10
	s_cmp_lt_u32 s10, s7
	s_cselect_b32 s16, s10, s8
	s_add_co_i32 s8, s6, -1
	s_delay_alu instid0(SALU_CYCLE_1) | instskip(NEXT) | instid1(SALU_CYCLE_1)
	s_add_co_i32 s3, s8, s3
	s_cmp_lt_u32 s5, s3
	s_cselect_b32 s3, s8, s5
	s_cmp_lt_u32 s5, s6
	s_cselect_b32 s17, s5, s3
	s_delay_alu instid0(SALU_CYCLE_1) | instskip(SKIP_3) | instid1(SALU_CYCLE_1)
	s_cmp_ge_u32 s17, s6
	s_cselect_b32 s3, -1, 0
	s_cmp_ge_u32 s16, s7
	s_cselect_b32 s5, -1, 0
	s_or_b32 s3, s3, s5
	s_delay_alu instid0(SALU_CYCLE_1)
	s_and_b32 vcc_lo, exec_lo, s3
	s_mov_b32 s3, 0
	s_cbranch_vccnz .LBB2_5
; %bb.1:
	s_clause 0x1
	s_load_b32 s5, s[0:1], 0x70
	s_load_b64 s[6:7], s[0:1], 0x38
	s_wait_kmcnt 0x0
	s_mul_i32 s4, s5, s4
	s_delay_alu instid0(SALU_CYCLE_1)
	s_add_co_i32 s2, s4, s2
	s_load_b32 s14, s[6:7], s2 offset:0x0 scale_offset
	s_wait_kmcnt 0x0
	s_cmp_eq_u32 s14, -1
	s_cbranch_scc1 .LBB2_5
; %bb.2:
	s_clause 0x2
	s_load_b64 s[10:11], s[0:1], 0x54
	s_load_b128 s[20:23], s[0:1], 0x8
	s_load_b128 s[4:7], s[0:1], 0x20
	v_and_b32_e32 v4, 0x3ff, v0
	v_bfe_u32 v5, v0, 10, 10
	s_mov_b32 s13, 0
	s_load_b32 s18, s[0:1], 0x40
	s_delay_alu instid0(VALU_DEP_2) | instskip(SKIP_4) | instid1(SALU_CYCLE_1)
	v_add_nc_u32_e32 v2, s17, v4
	s_wait_kmcnt 0x0
	v_mad_u32 v1, s10, v5, v4
	s_mul_i32 s15, s10, s10
	s_add_co_i32 s8, s11, 1
	s_mul_i32 s8, s15, s8
	s_delay_alu instid0(SALU_CYCLE_1) | instskip(NEXT) | instid1(SALU_CYCLE_1)
	s_mul_i32 s12, s8, s2
	s_lshl_b64 s[8:9], s[12:13], 2
	s_delay_alu instid0(SALU_CYCLE_1)
	s_add_nc_u64 s[8:9], s[20:21], s[8:9]
	s_clause 0x1
	global_load_b32 v0, v1, s[4:5] scale_offset
	global_load_b32 v3, v1, s[8:9] scale_offset
	s_wait_xcnt 0x1
	s_lshl_b64 s[4:5], s[2:3], 2
	s_wait_xcnt 0x0
	v_add_nc_u32_e32 v1, s16, v5
	s_add_nc_u64 s[20:21], s[22:23], s[4:5]
	s_load_b32 s3, s[20:21], 0x0
	s_load_b64 s[4:5], s[0:1], 0x30
	s_cmp_eq_u32 s14, 0
	v_mad_u32 v6, v1, s18, v2
	s_wait_loadcnt 0x0
	v_mul_f32_e32 v3, v0, v3
	s_wait_kmcnt 0x0
	s_delay_alu instid0(VALU_DEP_1)
	v_dual_mul_f32 v7, s3, v3 :: v_dual_mul_f32 v3, s3, v0
	global_atomic_add_f32 v6, v7, s[6:7] scale_offset scope:SCOPE_DEV
	s_wait_xcnt 0x0
	global_atomic_add_f32 v6, v3, s[4:5] scale_offset scope:SCOPE_DEV
	s_cbranch_scc1 .LBB2_5
; %bb.3:
	s_load_b64 s[0:1], s[0:1], 0x18
	v_add_nc_u32_e32 v5, s10, v5
	s_mul_i32 s12, s2, s11
	s_delay_alu instid0(VALU_DEP_1)
	v_mad_u32 v4, s10, v5, v4
	s_lshl_b64 s[10:11], s[12:13], 1
	s_wait_kmcnt 0x0
	s_add_nc_u64 s[0:1], s[0:1], s[10:11]
.LBB2_4:                                ; =>This Inner Loop Header: Depth=1
	global_load_b32 v5, v4, s[8:9] scale_offset
	s_load_u16 s2, s[0:1], 0x0
	s_add_co_i32 s14, s14, -1
	s_wait_xcnt 0x0
	s_add_nc_u64 s[0:1], s[0:1], 2
	v_add_nc_u32_e32 v4, s15, v4
	s_wait_kmcnt 0x0
	s_bfe_i32 s10, s2, 0x80008
	s_sext_i32_i8 s2, s2
	s_delay_alu instid0(SALU_CYCLE_1) | instskip(SKIP_1) | instid1(VALU_DEP_1)
	v_dual_add_nc_u32 v6, s10, v1 :: v_dual_add_nc_u32 v7, s2, v2
	s_cmp_lg_u32 s14, 0
	v_mad_u32 v6, v6, s18, v7
	s_wait_loadcnt 0x0
	v_mul_f32_e32 v5, v0, v5
	s_delay_alu instid0(VALU_DEP_1)
	v_mul_f32_e32 v5, s3, v5
	global_atomic_add_f32 v6, v5, s[6:7] scale_offset scope:SCOPE_DEV
	s_wait_xcnt 0x0
	global_atomic_add_f32 v6, v3, s[4:5] scale_offset scope:SCOPE_DEV
	s_cbranch_scc1 .LBB2_4
.LBB2_5:
	s_endpgm
	.section	.rodata,"a",@progbits
	.p2align	6, 0x0
	.amdhsa_kernel _Z15aggregate_block15HIP_vector_typeIjLj2EEPKfS2_PKtS2_PfS5_PKjS0_S0_6Params
		.amdhsa_group_segment_fixed_size 0
		.amdhsa_private_segment_fixed_size 0
		.amdhsa_kernarg_size 368
		.amdhsa_user_sgpr_count 2
		.amdhsa_user_sgpr_dispatch_ptr 0
		.amdhsa_user_sgpr_queue_ptr 0
		.amdhsa_user_sgpr_kernarg_segment_ptr 1
		.amdhsa_user_sgpr_dispatch_id 0
		.amdhsa_user_sgpr_kernarg_preload_length 0
		.amdhsa_user_sgpr_kernarg_preload_offset 0
		.amdhsa_user_sgpr_private_segment_size 0
		.amdhsa_wavefront_size32 1
		.amdhsa_uses_dynamic_stack 0
		.amdhsa_enable_private_segment 0
		.amdhsa_system_sgpr_workgroup_id_x 1
		.amdhsa_system_sgpr_workgroup_id_y 1
		.amdhsa_system_sgpr_workgroup_id_z 0
		.amdhsa_system_sgpr_workgroup_info 0
		.amdhsa_system_vgpr_workitem_id 1
		.amdhsa_next_free_vgpr 8
		.amdhsa_next_free_sgpr 24
		.amdhsa_named_barrier_count 0
		.amdhsa_reserve_vcc 1
		.amdhsa_float_round_mode_32 0
		.amdhsa_float_round_mode_16_64 0
		.amdhsa_float_denorm_mode_32 3
		.amdhsa_float_denorm_mode_16_64 3
		.amdhsa_fp16_overflow 0
		.amdhsa_memory_ordered 1
		.amdhsa_forward_progress 1
		.amdhsa_inst_pref_size 6
		.amdhsa_round_robin_scheduling 0
		.amdhsa_exception_fp_ieee_invalid_op 0
		.amdhsa_exception_fp_denorm_src 0
		.amdhsa_exception_fp_ieee_div_zero 0
		.amdhsa_exception_fp_ieee_overflow 0
		.amdhsa_exception_fp_ieee_underflow 0
		.amdhsa_exception_fp_ieee_inexact 0
		.amdhsa_exception_int_div_zero 0
	.end_amdhsa_kernel
	.text
.Lfunc_end2:
	.size	_Z15aggregate_block15HIP_vector_typeIjLj2EEPKfS2_PKtS2_PfS5_PKjS0_S0_6Params, .Lfunc_end2-_Z15aggregate_block15HIP_vector_typeIjLj2EEPKfS2_PKtS2_PfS5_PKjS0_S0_6Params
                                        ; -- End function
	.set _Z15aggregate_block15HIP_vector_typeIjLj2EEPKfS2_PKtS2_PfS5_PKjS0_S0_6Params.num_vgpr, 8
	.set _Z15aggregate_block15HIP_vector_typeIjLj2EEPKfS2_PKtS2_PfS5_PKjS0_S0_6Params.num_agpr, 0
	.set _Z15aggregate_block15HIP_vector_typeIjLj2EEPKfS2_PKtS2_PfS5_PKjS0_S0_6Params.numbered_sgpr, 24
	.set _Z15aggregate_block15HIP_vector_typeIjLj2EEPKfS2_PKtS2_PfS5_PKjS0_S0_6Params.num_named_barrier, 0
	.set _Z15aggregate_block15HIP_vector_typeIjLj2EEPKfS2_PKtS2_PfS5_PKjS0_S0_6Params.private_seg_size, 0
	.set _Z15aggregate_block15HIP_vector_typeIjLj2EEPKfS2_PKtS2_PfS5_PKjS0_S0_6Params.uses_vcc, 1
	.set _Z15aggregate_block15HIP_vector_typeIjLj2EEPKfS2_PKtS2_PfS5_PKjS0_S0_6Params.uses_flat_scratch, 0
	.set _Z15aggregate_block15HIP_vector_typeIjLj2EEPKfS2_PKtS2_PfS5_PKjS0_S0_6Params.has_dyn_sized_stack, 0
	.set _Z15aggregate_block15HIP_vector_typeIjLj2EEPKfS2_PKtS2_PfS5_PKjS0_S0_6Params.has_recursion, 0
	.set _Z15aggregate_block15HIP_vector_typeIjLj2EEPKfS2_PKtS2_PfS5_PKjS0_S0_6Params.has_indirect_call, 0
	.section	.AMDGPU.csdata,"",@progbits
; Kernel info:
; codeLenInByte = 680
; TotalNumSgprs: 26
; NumVgprs: 8
; ScratchSize: 0
; MemoryBound: 0
; FloatMode: 240
; IeeeMode: 1
; LDSByteSize: 0 bytes/workgroup (compile time only)
; SGPRBlocks: 0
; VGPRBlocks: 0
; NumSGPRsForWavesPerEU: 26
; NumVGPRsForWavesPerEU: 8
; NamedBarCnt: 0
; Occupancy: 16
; WaveLimiterHint : 1
; COMPUTE_PGM_RSRC2:SCRATCH_EN: 0
; COMPUTE_PGM_RSRC2:USER_SGPR: 2
; COMPUTE_PGM_RSRC2:TRAP_HANDLER: 0
; COMPUTE_PGM_RSRC2:TGID_X_EN: 1
; COMPUTE_PGM_RSRC2:TGID_Y_EN: 1
; COMPUTE_PGM_RSRC2:TGID_Z_EN: 0
; COMPUTE_PGM_RSRC2:TIDIG_COMP_CNT: 1
	.text
	.protected	_Z15aggregate_finalPKfS0_15HIP_vector_typeIjLj2EEPh ; -- Begin function _Z15aggregate_finalPKfS0_15HIP_vector_typeIjLj2EEPh
	.globl	_Z15aggregate_finalPKfS0_15HIP_vector_typeIjLj2EEPh
	.p2align	8
	.type	_Z15aggregate_finalPKfS0_15HIP_vector_typeIjLj2EEPh,@function
_Z15aggregate_finalPKfS0_15HIP_vector_typeIjLj2EEPh: ; @_Z15aggregate_finalPKfS0_15HIP_vector_typeIjLj2EEPh
; %bb.0:
	s_clause 0x1
	s_load_b32 s2, s[0:1], 0x2c
	s_load_b64 s[4:5], s[0:1], 0x10
	s_bfe_u32 s6, ttmp6, 0x4000c
	s_bfe_u32 s7, ttmp6, 0x40010
	s_add_co_i32 s6, s6, 1
	s_add_co_i32 s7, s7, 1
	s_and_b32 s3, ttmp6, 15
	s_bfe_u32 s8, ttmp6, 0x40004
	s_mul_i32 s6, ttmp9, s6
	s_mul_i32 s7, ttmp7, s7
	s_getreg_b32 s9, hwreg(HW_REG_IB_STS2, 6, 4)
	v_and_b32_e32 v1, 0x3ff, v0
	v_bfe_u32 v2, v0, 10, 10
	s_add_co_i32 s3, s3, s6
	s_add_co_i32 s8, s8, s7
	s_wait_kmcnt 0x0
	s_lshr_b32 s6, s2, 16
	s_and_b32 s2, s2, 0xffff
	s_cmp_eq_u32 s9, 0
	s_cselect_b32 s3, ttmp9, s3
	s_cselect_b32 s7, ttmp7, s8
	v_mad_u32 v0, s3, s2, v1
	v_mad_u32 v1, s7, s6, v2
	s_delay_alu instid0(VALU_DEP_2) | instskip(NEXT) | instid1(VALU_DEP_2)
	v_cmp_gt_u32_e32 vcc_lo, s4, v0
	v_cmp_gt_u32_e64 s2, s5, v1
	s_and_b32 s2, vcc_lo, s2
	s_delay_alu instid0(SALU_CYCLE_1)
	s_and_saveexec_b32 s3, s2
	s_cbranch_execz .LBB3_2
; %bb.1:
	s_load_b128 s[8:11], s[0:1], 0x0
	v_mad_u32 v0, v1, s4, v0
	s_wait_xcnt 0x0
	s_load_b64 s[0:1], s[0:1], 0x18
	s_wait_kmcnt 0x0
	s_clause 0x1
	global_load_b32 v1, v0, s[8:9] scale_offset
	global_load_b32 v2, v0, s[10:11] scale_offset
	s_wait_loadcnt 0x0
	v_div_scale_f32 v3, null, v2, v2, v1
	v_div_scale_f32 v6, vcc_lo, v1, v2, v1
	s_delay_alu instid0(VALU_DEP_2) | instskip(SKIP_1) | instid1(TRANS32_DEP_1)
	v_rcp_f32_e32 v4, v3
	v_nop
	v_fma_f32 v5, -v3, v4, 1.0
	s_delay_alu instid0(VALU_DEP_1) | instskip(NEXT) | instid1(VALU_DEP_1)
	v_fmac_f32_e32 v4, v5, v4
	v_mul_f32_e32 v5, v6, v4
	s_delay_alu instid0(VALU_DEP_1) | instskip(NEXT) | instid1(VALU_DEP_1)
	v_fma_f32 v7, -v3, v5, v6
	v_fmac_f32_e32 v5, v7, v4
	s_delay_alu instid0(VALU_DEP_1) | instskip(NEXT) | instid1(VALU_DEP_1)
	v_fma_f32 v3, -v3, v5, v6
	v_div_fmas_f32 v3, v3, v4, v5
	s_delay_alu instid0(VALU_DEP_1) | instskip(NEXT) | instid1(VALU_DEP_1)
	v_div_fixup_f32 v1, v3, v2, v1
	v_rndne_f32_e32 v1, v1
	s_delay_alu instid0(VALU_DEP_1) | instskip(NEXT) | instid1(VALU_DEP_1)
	v_mul_f32_e64 v2, 0x2f800000, |v1|
	v_floor_f32_e32 v2, v2
	s_delay_alu instid0(VALU_DEP_1) | instskip(SKIP_1) | instid1(VALU_DEP_2)
	v_fma_f32 v2, 0xcf800000, v2, |v1|
	v_ashrrev_i32_e32 v1, 31, v1
	v_cvt_u32_f32_e32 v2, v2
	s_delay_alu instid0(VALU_DEP_1) | instskip(NEXT) | instid1(VALU_DEP_1)
	v_xor_b32_e32 v2, v2, v1
	v_sub_nc_u32_e32 v1, v2, v1
	s_delay_alu instid0(VALU_DEP_1)
	v_med3_i32 v1, v1, 0, 0xff
	global_store_b8 v0, v1, s[0:1]
.LBB3_2:
	s_endpgm
	.section	.rodata,"a",@progbits
	.p2align	6, 0x0
	.amdhsa_kernel _Z15aggregate_finalPKfS0_15HIP_vector_typeIjLj2EEPh
		.amdhsa_group_segment_fixed_size 0
		.amdhsa_private_segment_fixed_size 0
		.amdhsa_kernarg_size 288
		.amdhsa_user_sgpr_count 2
		.amdhsa_user_sgpr_dispatch_ptr 0
		.amdhsa_user_sgpr_queue_ptr 0
		.amdhsa_user_sgpr_kernarg_segment_ptr 1
		.amdhsa_user_sgpr_dispatch_id 0
		.amdhsa_user_sgpr_kernarg_preload_length 0
		.amdhsa_user_sgpr_kernarg_preload_offset 0
		.amdhsa_user_sgpr_private_segment_size 0
		.amdhsa_wavefront_size32 1
		.amdhsa_uses_dynamic_stack 0
		.amdhsa_enable_private_segment 0
		.amdhsa_system_sgpr_workgroup_id_x 1
		.amdhsa_system_sgpr_workgroup_id_y 1
		.amdhsa_system_sgpr_workgroup_id_z 0
		.amdhsa_system_sgpr_workgroup_info 0
		.amdhsa_system_vgpr_workitem_id 1
		.amdhsa_next_free_vgpr 8
		.amdhsa_next_free_sgpr 12
		.amdhsa_named_barrier_count 0
		.amdhsa_reserve_vcc 1
		.amdhsa_float_round_mode_32 0
		.amdhsa_float_round_mode_16_64 0
		.amdhsa_float_denorm_mode_32 3
		.amdhsa_float_denorm_mode_16_64 3
		.amdhsa_fp16_overflow 0
		.amdhsa_memory_ordered 1
		.amdhsa_forward_progress 1
		.amdhsa_inst_pref_size 4
		.amdhsa_round_robin_scheduling 0
		.amdhsa_exception_fp_ieee_invalid_op 0
		.amdhsa_exception_fp_denorm_src 0
		.amdhsa_exception_fp_ieee_div_zero 0
		.amdhsa_exception_fp_ieee_overflow 0
		.amdhsa_exception_fp_ieee_underflow 0
		.amdhsa_exception_fp_ieee_inexact 0
		.amdhsa_exception_int_div_zero 0
	.end_amdhsa_kernel
	.text
.Lfunc_end3:
	.size	_Z15aggregate_finalPKfS0_15HIP_vector_typeIjLj2EEPh, .Lfunc_end3-_Z15aggregate_finalPKfS0_15HIP_vector_typeIjLj2EEPh
                                        ; -- End function
	.set _Z15aggregate_finalPKfS0_15HIP_vector_typeIjLj2EEPh.num_vgpr, 8
	.set _Z15aggregate_finalPKfS0_15HIP_vector_typeIjLj2EEPh.num_agpr, 0
	.set _Z15aggregate_finalPKfS0_15HIP_vector_typeIjLj2EEPh.numbered_sgpr, 12
	.set _Z15aggregate_finalPKfS0_15HIP_vector_typeIjLj2EEPh.num_named_barrier, 0
	.set _Z15aggregate_finalPKfS0_15HIP_vector_typeIjLj2EEPh.private_seg_size, 0
	.set _Z15aggregate_finalPKfS0_15HIP_vector_typeIjLj2EEPh.uses_vcc, 1
	.set _Z15aggregate_finalPKfS0_15HIP_vector_typeIjLj2EEPh.uses_flat_scratch, 0
	.set _Z15aggregate_finalPKfS0_15HIP_vector_typeIjLj2EEPh.has_dyn_sized_stack, 0
	.set _Z15aggregate_finalPKfS0_15HIP_vector_typeIjLj2EEPh.has_recursion, 0
	.set _Z15aggregate_finalPKfS0_15HIP_vector_typeIjLj2EEPh.has_indirect_call, 0
	.section	.AMDGPU.csdata,"",@progbits
; Kernel info:
; codeLenInByte = 420
; TotalNumSgprs: 14
; NumVgprs: 8
; ScratchSize: 0
; MemoryBound: 0
; FloatMode: 240
; IeeeMode: 1
; LDSByteSize: 0 bytes/workgroup (compile time only)
; SGPRBlocks: 0
; VGPRBlocks: 0
; NumSGPRsForWavesPerEU: 14
; NumVGPRsForWavesPerEU: 8
; NamedBarCnt: 0
; Occupancy: 16
; WaveLimiterHint : 0
; COMPUTE_PGM_RSRC2:SCRATCH_EN: 0
; COMPUTE_PGM_RSRC2:USER_SGPR: 2
; COMPUTE_PGM_RSRC2:TRAP_HANDLER: 0
; COMPUTE_PGM_RSRC2:TGID_X_EN: 1
; COMPUTE_PGM_RSRC2:TGID_Y_EN: 1
; COMPUTE_PGM_RSRC2:TGID_Z_EN: 0
; COMPUTE_PGM_RSRC2:TIDIG_COMP_CNT: 1
	.text
	.p2alignl 7, 3214868480
	.fill 96, 4, 3214868480
	.section	.AMDGPU.gpr_maximums,"",@progbits
	.set amdgpu.max_num_vgpr, 0
	.set amdgpu.max_num_agpr, 0
	.set amdgpu.max_num_sgpr, 0
	.text
	.type	__hip_cuid_13c20d5f3881ecc6,@object ; @__hip_cuid_13c20d5f3881ecc6
	.section	.bss,"aw",@nobits
	.globl	__hip_cuid_13c20d5f3881ecc6
__hip_cuid_13c20d5f3881ecc6:
	.byte	0                               ; 0x0
	.size	__hip_cuid_13c20d5f3881ecc6, 1

	.ident	"AMD clang version 22.0.0git (https://github.com/RadeonOpenCompute/llvm-project roc-7.2.4 26084 f58b06dce1f9c15707c5f808fd002e18c2accf7e)"
	.section	".note.GNU-stack","",@progbits
	.addrsig
	.addrsig_sym __hip_cuid_13c20d5f3881ecc6
	.amdgpu_metadata
---
amdhsa.kernels:
  - .args:
      - .offset:         0
        .size:           8
        .value_kind:     by_value
      - .actual_access:  read_only
        .address_space:  global
        .offset:         8
        .size:           8
        .value_kind:     global_buffer
      - .actual_access:  read_only
        .address_space:  global
        .offset:         16
        .size:           8
        .value_kind:     global_buffer
      - .actual_access:  read_only
        .address_space:  global
        .offset:         24
        .size:           8
        .value_kind:     global_buffer
      - .actual_access:  write_only
        .address_space:  global
        .offset:         32
        .size:           8
        .value_kind:     global_buffer
      - .offset:         40
        .size:           8
        .value_kind:     by_value
      - .offset:         48
        .size:           8
        .value_kind:     by_value
      - .offset:         56
        .size:           28
        .value_kind:     by_value
      - .offset:         88
        .size:           4
        .value_kind:     hidden_block_count_x
      - .offset:         92
        .size:           4
        .value_kind:     hidden_block_count_y
      - .offset:         96
        .size:           4
        .value_kind:     hidden_block_count_z
      - .offset:         100
        .size:           2
        .value_kind:     hidden_group_size_x
      - .offset:         102
        .size:           2
        .value_kind:     hidden_group_size_y
      - .offset:         104
        .size:           2
        .value_kind:     hidden_group_size_z
      - .offset:         106
        .size:           2
        .value_kind:     hidden_remainder_x
      - .offset:         108
        .size:           2
        .value_kind:     hidden_remainder_y
      - .offset:         110
        .size:           2
        .value_kind:     hidden_remainder_z
      - .offset:         128
        .size:           8
        .value_kind:     hidden_global_offset_x
      - .offset:         136
        .size:           8
        .value_kind:     hidden_global_offset_y
      - .offset:         144
        .size:           8
        .value_kind:     hidden_global_offset_z
      - .offset:         152
        .size:           2
        .value_kind:     hidden_grid_dims
    .group_segment_fixed_size: 0
    .kernarg_segment_align: 8
    .kernarg_segment_size: 344
    .language:       OpenCL C
    .language_version:
      - 2
      - 0
    .max_flat_workgroup_size: 1024
    .name:           _Z9get_block15HIP_vector_typeIjLj2EEPKhPKtPKjPfS0_S0_6Params
    .private_segment_fixed_size: 0
    .sgpr_count:     25
    .sgpr_spill_count: 0
    .symbol:         _Z9get_block15HIP_vector_typeIjLj2EEPKhPKtPKjPfS0_S0_6Params.kd
    .uniform_work_group_size: 1
    .uses_dynamic_stack: false
    .vgpr_count:     16
    .vgpr_spill_count: 0
    .wavefront_size: 32
  - .args:
      - .offset:         0
        .size:           8
        .value_kind:     by_value
      - .address_space:  global
        .offset:         8
        .size:           8
        .value_kind:     global_buffer
      - .actual_access:  write_only
        .address_space:  global
        .offset:         16
        .size:           8
        .value_kind:     global_buffer
      - .actual_access:  read_only
        .address_space:  global
        .offset:         24
        .size:           8
        .value_kind:     global_buffer
      - .offset:         32
        .size:           8
        .value_kind:     by_value
      - .offset:         40
        .size:           28
        .value_kind:     by_value
      - .offset:         68
        .size:           4
        .value_kind:     by_value
      - .offset:         72
        .size:           4
        .value_kind:     hidden_block_count_x
      - .offset:         76
        .size:           4
        .value_kind:     hidden_block_count_y
      - .offset:         80
        .size:           4
        .value_kind:     hidden_block_count_z
      - .offset:         84
        .size:           2
        .value_kind:     hidden_group_size_x
      - .offset:         86
        .size:           2
        .value_kind:     hidden_group_size_y
      - .offset:         88
        .size:           2
        .value_kind:     hidden_group_size_z
      - .offset:         90
        .size:           2
        .value_kind:     hidden_remainder_x
      - .offset:         92
        .size:           2
        .value_kind:     hidden_remainder_y
      - .offset:         94
        .size:           2
        .value_kind:     hidden_remainder_z
      - .offset:         112
        .size:           8
        .value_kind:     hidden_global_offset_x
      - .offset:         120
        .size:           8
        .value_kind:     hidden_global_offset_y
      - .offset:         128
        .size:           8
        .value_kind:     hidden_global_offset_z
      - .offset:         136
        .size:           2
        .value_kind:     hidden_grid_dims
      - .offset:         192
        .size:           4
        .value_kind:     hidden_dynamic_lds_size
    .group_segment_fixed_size: 0
    .kernarg_segment_align: 8
    .kernarg_segment_size: 328
    .language:       OpenCL C
    .language_version:
      - 2
      - 0
    .max_flat_workgroup_size: 1024
    .name:           _Z19hard_treshold_block15HIP_vector_typeIjLj2EEPfS1_PKjS0_6Paramsj
    .private_segment_fixed_size: 0
    .sgpr_count:     32
    .sgpr_spill_count: 0
    .symbol:         _Z19hard_treshold_block15HIP_vector_typeIjLj2EEPfS1_PKjS0_6Paramsj.kd
    .uniform_work_group_size: 1
    .uses_dynamic_stack: false
    .vgpr_count:     19
    .vgpr_spill_count: 0
    .wavefront_size: 32
  - .args:
      - .offset:         0
        .size:           8
        .value_kind:     by_value
      - .actual_access:  read_only
        .address_space:  global
        .offset:         8
        .size:           8
        .value_kind:     global_buffer
      - .actual_access:  read_only
        .address_space:  global
        .offset:         16
        .size:           8
        .value_kind:     global_buffer
      - .actual_access:  read_only
        .address_space:  global
        .offset:         24
        .size:           8
        .value_kind:     global_buffer
      - .actual_access:  read_only
        .address_space:  global
        .offset:         32
        .size:           8
        .value_kind:     global_buffer
      - .address_space:  global
        .offset:         40
        .size:           8
        .value_kind:     global_buffer
      - .address_space:  global
        .offset:         48
        .size:           8
        .value_kind:     global_buffer
      - .actual_access:  read_only
        .address_space:  global
        .offset:         56
        .size:           8
        .value_kind:     global_buffer
      - .offset:         64
        .size:           8
        .value_kind:     by_value
      - .offset:         72
        .size:           8
        .value_kind:     by_value
      - .offset:         80
        .size:           28
        .value_kind:     by_value
      - .offset:         112
        .size:           4
        .value_kind:     hidden_block_count_x
      - .offset:         116
        .size:           4
        .value_kind:     hidden_block_count_y
      - .offset:         120
        .size:           4
        .value_kind:     hidden_block_count_z
      - .offset:         124
        .size:           2
        .value_kind:     hidden_group_size_x
      - .offset:         126
        .size:           2
        .value_kind:     hidden_group_size_y
      - .offset:         128
        .size:           2
        .value_kind:     hidden_group_size_z
      - .offset:         130
        .size:           2
        .value_kind:     hidden_remainder_x
      - .offset:         132
        .size:           2
        .value_kind:     hidden_remainder_y
      - .offset:         134
        .size:           2
        .value_kind:     hidden_remainder_z
      - .offset:         152
        .size:           8
        .value_kind:     hidden_global_offset_x
      - .offset:         160
        .size:           8
        .value_kind:     hidden_global_offset_y
      - .offset:         168
        .size:           8
        .value_kind:     hidden_global_offset_z
      - .offset:         176
        .size:           2
        .value_kind:     hidden_grid_dims
    .group_segment_fixed_size: 0
    .kernarg_segment_align: 8
    .kernarg_segment_size: 368
    .language:       OpenCL C
    .language_version:
      - 2
      - 0
    .max_flat_workgroup_size: 1024
    .name:           _Z15aggregate_block15HIP_vector_typeIjLj2EEPKfS2_PKtS2_PfS5_PKjS0_S0_6Params
    .private_segment_fixed_size: 0
    .sgpr_count:     26
    .sgpr_spill_count: 0
    .symbol:         _Z15aggregate_block15HIP_vector_typeIjLj2EEPKfS2_PKtS2_PfS5_PKjS0_S0_6Params.kd
    .uniform_work_group_size: 1
    .uses_dynamic_stack: false
    .vgpr_count:     8
    .vgpr_spill_count: 0
    .wavefront_size: 32
  - .args:
      - .actual_access:  read_only
        .address_space:  global
        .offset:         0
        .size:           8
        .value_kind:     global_buffer
      - .actual_access:  read_only
        .address_space:  global
        .offset:         8
        .size:           8
        .value_kind:     global_buffer
      - .offset:         16
        .size:           8
        .value_kind:     by_value
      - .actual_access:  write_only
        .address_space:  global
        .offset:         24
        .size:           8
        .value_kind:     global_buffer
      - .offset:         32
        .size:           4
        .value_kind:     hidden_block_count_x
      - .offset:         36
        .size:           4
        .value_kind:     hidden_block_count_y
      - .offset:         40
        .size:           4
        .value_kind:     hidden_block_count_z
      - .offset:         44
        .size:           2
        .value_kind:     hidden_group_size_x
      - .offset:         46
        .size:           2
        .value_kind:     hidden_group_size_y
      - .offset:         48
        .size:           2
        .value_kind:     hidden_group_size_z
      - .offset:         50
        .size:           2
        .value_kind:     hidden_remainder_x
      - .offset:         52
        .size:           2
        .value_kind:     hidden_remainder_y
      - .offset:         54
        .size:           2
        .value_kind:     hidden_remainder_z
      - .offset:         72
        .size:           8
        .value_kind:     hidden_global_offset_x
      - .offset:         80
        .size:           8
        .value_kind:     hidden_global_offset_y
      - .offset:         88
        .size:           8
        .value_kind:     hidden_global_offset_z
      - .offset:         96
        .size:           2
        .value_kind:     hidden_grid_dims
    .group_segment_fixed_size: 0
    .kernarg_segment_align: 8
    .kernarg_segment_size: 288
    .language:       OpenCL C
    .language_version:
      - 2
      - 0
    .max_flat_workgroup_size: 1024
    .name:           _Z15aggregate_finalPKfS0_15HIP_vector_typeIjLj2EEPh
    .private_segment_fixed_size: 0
    .sgpr_count:     14
    .sgpr_spill_count: 0
    .symbol:         _Z15aggregate_finalPKfS0_15HIP_vector_typeIjLj2EEPh.kd
    .uniform_work_group_size: 1
    .uses_dynamic_stack: false
    .vgpr_count:     8
    .vgpr_spill_count: 0
    .wavefront_size: 32
amdhsa.target:   amdgcn-amd-amdhsa--gfx1250
amdhsa.version:
  - 1
  - 2
...

	.end_amdgpu_metadata
